;; amdgpu-corpus repo=ROCm/rocFFT kind=compiled arch=gfx1030 opt=O3
	.text
	.amdgcn_target "amdgcn-amd-amdhsa--gfx1030"
	.amdhsa_code_object_version 6
	.protected	fft_rtc_fwd_len77_factors_7_11_wgs_253_tpt_11_halfLds_half_ip_CI_unitstride_sbrr_dirReg ; -- Begin function fft_rtc_fwd_len77_factors_7_11_wgs_253_tpt_11_halfLds_half_ip_CI_unitstride_sbrr_dirReg
	.globl	fft_rtc_fwd_len77_factors_7_11_wgs_253_tpt_11_halfLds_half_ip_CI_unitstride_sbrr_dirReg
	.p2align	8
	.type	fft_rtc_fwd_len77_factors_7_11_wgs_253_tpt_11_halfLds_half_ip_CI_unitstride_sbrr_dirReg,@function
fft_rtc_fwd_len77_factors_7_11_wgs_253_tpt_11_halfLds_half_ip_CI_unitstride_sbrr_dirReg: ; @fft_rtc_fwd_len77_factors_7_11_wgs_253_tpt_11_halfLds_half_ip_CI_unitstride_sbrr_dirReg
; %bb.0:
	s_load_dwordx4 s[8:11], s[4:5], 0x0
	v_mul_u32_u24_e32 v1, 0x1746, v0
	s_clause 0x1
	s_load_dwordx2 s[2:3], s[4:5], 0x50
	s_load_dwordx2 s[12:13], s[4:5], 0x18
	v_mov_b32_e32 v6, 0
	v_lshrrev_b32_e32 v1, 16, v1
	v_mad_u64_u32 v[4:5], null, s6, 23, v[1:2]
	v_mov_b32_e32 v5, v6
	v_mov_b32_e32 v1, 0
	;; [unrolled: 1-line block ×5, first 2 shown]
	s_waitcnt lgkmcnt(0)
	v_cmp_lt_u64_e64 s0, s[10:11], 2
	s_and_b32 vcc_lo, exec_lo, s0
	s_cbranch_vccnz .LBB0_8
; %bb.1:
	s_load_dwordx2 s[0:1], s[4:5], 0x10
	v_mov_b32_e32 v1, 0
	v_mov_b32_e32 v9, v5
	s_add_u32 s6, s12, 8
	v_mov_b32_e32 v2, 0
	v_mov_b32_e32 v8, v4
	s_addc_u32 s7, s13, 0
	s_mov_b64 s[16:17], 1
	s_waitcnt lgkmcnt(0)
	s_add_u32 s14, s0, 8
	s_addc_u32 s15, s1, 0
.LBB0_2:                                ; =>This Inner Loop Header: Depth=1
	s_load_dwordx2 s[18:19], s[14:15], 0x0
                                        ; implicit-def: $vgpr10_vgpr11
	s_mov_b32 s0, exec_lo
	s_waitcnt lgkmcnt(0)
	v_or_b32_e32 v7, s19, v9
	v_cmpx_ne_u64_e32 0, v[6:7]
	s_xor_b32 s1, exec_lo, s0
	s_cbranch_execz .LBB0_4
; %bb.3:                                ;   in Loop: Header=BB0_2 Depth=1
	v_cvt_f32_u32_e32 v3, s18
	v_cvt_f32_u32_e32 v5, s19
	s_sub_u32 s0, 0, s18
	s_subb_u32 s20, 0, s19
	v_fmac_f32_e32 v3, 0x4f800000, v5
	v_rcp_f32_e32 v3, v3
	v_mul_f32_e32 v3, 0x5f7ffffc, v3
	v_mul_f32_e32 v5, 0x2f800000, v3
	v_trunc_f32_e32 v5, v5
	v_fmac_f32_e32 v3, 0xcf800000, v5
	v_cvt_u32_f32_e32 v5, v5
	v_cvt_u32_f32_e32 v3, v3
	v_mul_lo_u32 v7, s0, v5
	v_mul_hi_u32 v10, s0, v3
	v_mul_lo_u32 v11, s20, v3
	v_add_nc_u32_e32 v7, v10, v7
	v_mul_lo_u32 v10, s0, v3
	v_add_nc_u32_e32 v7, v7, v11
	v_mul_hi_u32 v11, v3, v10
	v_mul_lo_u32 v12, v3, v7
	v_mul_hi_u32 v13, v3, v7
	v_mul_hi_u32 v14, v5, v10
	v_mul_lo_u32 v10, v5, v10
	v_mul_hi_u32 v15, v5, v7
	v_mul_lo_u32 v7, v5, v7
	v_add_co_u32 v11, vcc_lo, v11, v12
	v_add_co_ci_u32_e32 v12, vcc_lo, 0, v13, vcc_lo
	v_add_co_u32 v10, vcc_lo, v11, v10
	v_add_co_ci_u32_e32 v10, vcc_lo, v12, v14, vcc_lo
	v_add_co_ci_u32_e32 v11, vcc_lo, 0, v15, vcc_lo
	v_add_co_u32 v7, vcc_lo, v10, v7
	v_add_co_ci_u32_e32 v10, vcc_lo, 0, v11, vcc_lo
	v_add_co_u32 v3, vcc_lo, v3, v7
	v_add_co_ci_u32_e32 v5, vcc_lo, v5, v10, vcc_lo
	v_mul_hi_u32 v7, s0, v3
	v_mul_lo_u32 v11, s20, v3
	v_mul_lo_u32 v10, s0, v5
	v_add_nc_u32_e32 v7, v7, v10
	v_mul_lo_u32 v10, s0, v3
	v_add_nc_u32_e32 v7, v7, v11
	v_mul_hi_u32 v11, v3, v10
	v_mul_lo_u32 v12, v3, v7
	v_mul_hi_u32 v13, v3, v7
	v_mul_hi_u32 v14, v5, v10
	v_mul_lo_u32 v10, v5, v10
	v_mul_hi_u32 v15, v5, v7
	v_mul_lo_u32 v7, v5, v7
	v_add_co_u32 v11, vcc_lo, v11, v12
	v_add_co_ci_u32_e32 v12, vcc_lo, 0, v13, vcc_lo
	v_add_co_u32 v10, vcc_lo, v11, v10
	v_add_co_ci_u32_e32 v10, vcc_lo, v12, v14, vcc_lo
	v_add_co_ci_u32_e32 v11, vcc_lo, 0, v15, vcc_lo
	v_add_co_u32 v7, vcc_lo, v10, v7
	v_add_co_ci_u32_e32 v10, vcc_lo, 0, v11, vcc_lo
	v_add_co_u32 v3, vcc_lo, v3, v7
	v_add_co_ci_u32_e32 v5, vcc_lo, v5, v10, vcc_lo
	v_mul_hi_u32 v7, v8, v3
	v_mad_u64_u32 v[12:13], null, v9, v3, 0
	v_mad_u64_u32 v[10:11], null, v8, v5, 0
	v_mad_u64_u32 v[14:15], null, v9, v5, 0
	v_add_co_u32 v3, vcc_lo, v7, v10
	v_add_co_ci_u32_e32 v5, vcc_lo, 0, v11, vcc_lo
	v_add_co_u32 v3, vcc_lo, v3, v12
	v_add_co_ci_u32_e32 v3, vcc_lo, v5, v13, vcc_lo
	v_add_co_ci_u32_e32 v5, vcc_lo, 0, v15, vcc_lo
	v_add_co_u32 v3, vcc_lo, v3, v14
	v_add_co_ci_u32_e32 v5, vcc_lo, 0, v5, vcc_lo
	v_mul_lo_u32 v7, s19, v3
	v_mad_u64_u32 v[10:11], null, s18, v3, 0
	v_mul_lo_u32 v12, s18, v5
	v_sub_co_u32 v10, vcc_lo, v8, v10
	v_add3_u32 v7, v11, v12, v7
	v_sub_nc_u32_e32 v11, v9, v7
	v_subrev_co_ci_u32_e64 v11, s0, s19, v11, vcc_lo
	v_add_co_u32 v12, s0, v3, 2
	v_add_co_ci_u32_e64 v13, s0, 0, v5, s0
	v_sub_co_u32 v14, s0, v10, s18
	v_sub_co_ci_u32_e32 v7, vcc_lo, v9, v7, vcc_lo
	v_subrev_co_ci_u32_e64 v11, s0, 0, v11, s0
	v_cmp_le_u32_e32 vcc_lo, s18, v14
	v_cmp_eq_u32_e64 s0, s19, v7
	v_cndmask_b32_e64 v14, 0, -1, vcc_lo
	v_cmp_le_u32_e32 vcc_lo, s19, v11
	v_cndmask_b32_e64 v15, 0, -1, vcc_lo
	v_cmp_le_u32_e32 vcc_lo, s18, v10
	;; [unrolled: 2-line block ×3, first 2 shown]
	v_cndmask_b32_e64 v16, 0, -1, vcc_lo
	v_cmp_eq_u32_e32 vcc_lo, s19, v11
	v_cndmask_b32_e64 v7, v16, v10, s0
	v_cndmask_b32_e32 v11, v15, v14, vcc_lo
	v_add_co_u32 v14, vcc_lo, v3, 1
	v_add_co_ci_u32_e32 v15, vcc_lo, 0, v5, vcc_lo
	v_cmp_ne_u32_e32 vcc_lo, 0, v11
	v_cndmask_b32_e32 v10, v15, v13, vcc_lo
	v_cndmask_b32_e32 v12, v14, v12, vcc_lo
	v_cmp_ne_u32_e32 vcc_lo, 0, v7
	v_cndmask_b32_e32 v11, v5, v10, vcc_lo
	v_cndmask_b32_e32 v10, v3, v12, vcc_lo
.LBB0_4:                                ;   in Loop: Header=BB0_2 Depth=1
	s_andn2_saveexec_b32 s0, s1
	s_cbranch_execz .LBB0_6
; %bb.5:                                ;   in Loop: Header=BB0_2 Depth=1
	v_cvt_f32_u32_e32 v3, s18
	s_sub_i32 s1, 0, s18
	v_mov_b32_e32 v11, v6
	v_rcp_iflag_f32_e32 v3, v3
	v_mul_f32_e32 v3, 0x4f7ffffe, v3
	v_cvt_u32_f32_e32 v3, v3
	v_mul_lo_u32 v5, s1, v3
	v_mul_hi_u32 v5, v3, v5
	v_add_nc_u32_e32 v3, v3, v5
	v_mul_hi_u32 v3, v8, v3
	v_mul_lo_u32 v5, v3, s18
	v_add_nc_u32_e32 v7, 1, v3
	v_sub_nc_u32_e32 v5, v8, v5
	v_subrev_nc_u32_e32 v10, s18, v5
	v_cmp_le_u32_e32 vcc_lo, s18, v5
	v_cndmask_b32_e32 v5, v5, v10, vcc_lo
	v_cndmask_b32_e32 v3, v3, v7, vcc_lo
	v_cmp_le_u32_e32 vcc_lo, s18, v5
	v_add_nc_u32_e32 v7, 1, v3
	v_cndmask_b32_e32 v10, v3, v7, vcc_lo
.LBB0_6:                                ;   in Loop: Header=BB0_2 Depth=1
	s_or_b32 exec_lo, exec_lo, s0
	s_load_dwordx2 s[0:1], s[6:7], 0x0
	v_mul_lo_u32 v3, v11, s18
	v_mul_lo_u32 v5, v10, s19
	v_mad_u64_u32 v[12:13], null, v10, s18, 0
	s_add_u32 s16, s16, 1
	s_addc_u32 s17, s17, 0
	s_add_u32 s6, s6, 8
	s_addc_u32 s7, s7, 0
	;; [unrolled: 2-line block ×3, first 2 shown]
	v_add3_u32 v3, v13, v5, v3
	v_sub_co_u32 v5, vcc_lo, v8, v12
	v_sub_co_ci_u32_e32 v3, vcc_lo, v9, v3, vcc_lo
	s_waitcnt lgkmcnt(0)
	v_mul_lo_u32 v7, s1, v5
	v_mul_lo_u32 v3, s0, v3
	v_mad_u64_u32 v[1:2], null, s0, v5, v[1:2]
	v_cmp_ge_u64_e64 s0, s[16:17], s[10:11]
	s_and_b32 vcc_lo, exec_lo, s0
	v_add3_u32 v2, v7, v2, v3
	s_cbranch_vccnz .LBB0_8
; %bb.7:                                ;   in Loop: Header=BB0_2 Depth=1
	v_mov_b32_e32 v8, v10
	v_mov_b32_e32 v9, v11
	s_branch .LBB0_2
.LBB0_8:
	s_lshl_b64 s[0:1], s[10:11], 3
	v_mul_hi_u32 v5, 0x1745d175, v0
	s_add_u32 s0, s12, s0
	s_addc_u32 s1, s13, s1
	v_mov_b32_e32 v14, 0
	s_load_dwordx2 s[0:1], s[0:1], 0x0
	s_load_dwordx2 s[4:5], s[4:5], 0x20
	v_mov_b32_e32 v18, 0
                                        ; implicit-def: $vgpr19
                                        ; implicit-def: $vgpr17
                                        ; implicit-def: $vgpr20
                                        ; implicit-def: $vgpr21
	v_mul_u32_u24_e32 v5, 11, v5
	v_sub_nc_u32_e32 v0, v0, v5
	v_mov_b32_e32 v5, 0
	s_waitcnt lgkmcnt(0)
	v_mul_lo_u32 v6, s0, v11
	v_mul_lo_u32 v7, s1, v10
	v_mad_u64_u32 v[2:3], null, s0, v10, v[1:2]
	v_cmp_gt_u64_e32 vcc_lo, s[4:5], v[10:11]
	v_mov_b32_e32 v1, 0
	v_add3_u32 v3, v7, v3, v6
	v_lshlrev_b64 v[2:3], 2, v[2:3]
	s_and_saveexec_b32 s1, vcc_lo
	s_cbranch_execz .LBB0_10
; %bb.9:
	v_mov_b32_e32 v1, 0
	v_lshlrev_b64 v[5:6], 2, v[0:1]
	v_add_co_u32 v1, s0, s2, v2
	v_add_co_ci_u32_e64 v7, s0, s3, v3, s0
	v_add_co_u32 v5, s0, v1, v5
	v_add_co_ci_u32_e64 v6, s0, v7, v6, s0
	s_clause 0x6
	global_load_dword v7, v[5:6], off offset:220
	global_load_dword v8, v[5:6], off offset:132
	;; [unrolled: 1-line block ×3, first 2 shown]
	global_load_dword v1, v[5:6], off
	global_load_dword v14, v[5:6], off offset:44
	global_load_dword v18, v[5:6], off offset:88
	;; [unrolled: 1-line block ×3, first 2 shown]
	s_waitcnt vmcnt(6)
	v_lshrrev_b32_e32 v19, 16, v7
	s_waitcnt vmcnt(5)
	v_perm_b32 v20, v7, v8, 0x5040100
	s_waitcnt vmcnt(4)
	v_perm_b32 v21, v17, v8, 0x7060302
.LBB0_10:
	s_or_b32 exec_lo, exec_lo, s1
	s_waitcnt vmcnt(0)
	v_perm_b32 v22, v18, v5, 0x5040100
	v_perm_b32 v23, v14, v5, 0x7060302
	v_add_f16_e32 v5, v17, v14
	v_sub_f16_sdwa v8, v18, v19 dst_sel:DWORD dst_unused:UNUSED_PAD src0_sel:WORD_1 src1_sel:DWORD
	v_mul_hi_u32 v6, 0xb21642c9, v4
	v_pk_add_f16 v7, v20, v22
	v_pk_add_f16 v9, v23, v21 neg_lo:[0,1] neg_hi:[0,1]
	v_cmp_gt_u32_e64 s0, 7, v0
	v_lshlrev_b32_e32 v30, 1, v0
	v_add_f16_sdwa v10, v5, v7 dst_sel:DWORD dst_unused:UNUSED_PAD src0_sel:DWORD src1_sel:WORD_1
	v_sub_f16_e32 v11, v5, v7
	v_alignbit_b32 v5, v5, v7, 16
	v_pack_b32_f16 v12, v8, v9
	v_add_f16_e32 v13, v8, v9
	v_sub_f16_sdwa v8, v8, v9 dst_sel:DWORD dst_unused:UNUSED_PAD src0_sel:DWORD src1_sel:WORD_1
	v_lshrrev_b32_e32 v6, 4, v6
	v_pk_add_f16 v15, v7, v5 neg_lo:[0,1] neg_hi:[0,1]
	v_pk_add_f16 v12, v9, v12 neg_lo:[0,1] neg_hi:[0,1]
	v_add_f16_e32 v7, v10, v7
	v_add_f16_sdwa v9, v9, v13 dst_sel:DWORD dst_unused:UNUSED_PAD src0_sel:WORD_1 src1_sel:DWORD
	v_mul_f16_e32 v10, 0xba52, v11
	v_pk_mul_f16 v13, 0x39e02b26, v15
	v_mul_f16_e32 v8, 0x3b00, v8
	v_add_f16_e32 v5, v7, v1
	v_pk_mul_f16 v24, 0x3574b846, v12
	v_mul_lo_u32 v6, v6, 23
	v_alignbit_b32 v10, v10, v13, 16
	v_mul_f16_e32 v16, 0x370e, v9
	v_pk_fma_f16 v8, 0x3574b846, v12, v8 op_sel_hi:[1,1,0] neg_lo:[0,1,0] neg_hi:[0,1,1]
	v_fmamk_f16 v7, v7, 0xbcab, v5
	v_fmamk_f16 v11, v11, 0x3a52, v13
	v_add_f16_sdwa v12, v24, v24 dst_sel:DWORD dst_unused:UNUSED_PAD src0_sel:WORD_1 src1_sel:DWORD
	v_pk_fma_f16 v10, 0x39e02b26, v15, v10 neg_lo:[0,1,0] neg_hi:[0,1,0]
	v_sub_nc_u32_e32 v6, v4, v6
	v_pk_add_f16 v13, v8, v16 op_sel_hi:[1,0]
	v_add_f16_e32 v11, v11, v7
	v_fmac_f16_e32 v12, 0x370e, v9
	v_pk_add_f16 v7, v10, v7 op_sel_hi:[1,0]
	v_mad_u32_u24 v4, v0, 14, 0
	v_mul_u32_u24_e32 v9, 0x4d, v6
                                        ; implicit-def: $vgpr16
                                        ; implicit-def: $vgpr15
	v_add_f16_e32 v8, v11, v12
	v_pk_add_f16 v6, v7, v13
	v_pk_add_f16 v7, v7, v13 neg_lo:[0,1] neg_hi:[0,1]
	v_lshl_add_u32 v25, v9, 1, v4
	v_lshlrev_b32_e32 v29, 1, v9
	v_pack_b32_f16 v26, v5, v8
	v_sub_f16_e32 v9, v11, v12
	v_bfi_b32 v28, 0xffff, v6, v7
	v_alignbit_b32 v27, v7, v6, 16
	v_lshrrev_b32_e32 v11, 16, v6
	v_lshrrev_b32_e32 v10, 16, v7
	ds_write_b16 v25, v9 offset:12
                                        ; implicit-def: $vgpr13
                                        ; implicit-def: $vgpr12
	ds_write_b96 v25, v[26:28]
	s_waitcnt lgkmcnt(0)
	s_barrier
	buffer_gl0_inv
	s_and_saveexec_b32 s1, s0
	s_cbranch_execz .LBB0_12
; %bb.11:
	v_mul_i32_i24_e32 v5, -12, v0
	v_add3_u32 v6, 0, v29, v30
	v_add3_u32 v4, v4, v5, v29
	ds_read_u16 v5, v6
	ds_read_u16 v8, v4 offset:14
	ds_read_u16 v11, v4 offset:28
	;; [unrolled: 1-line block ×10, first 2 shown]
.LBB0_12:
	s_or_b32 exec_lo, exec_lo, s1
	v_add_f16_sdwa v4, v19, v18 dst_sel:DWORD dst_unused:UNUSED_PAD src0_sel:DWORD src1_sel:WORD_1
	v_pk_add_f16 v18, v21, v23
	v_sub_f16_e32 v14, v14, v17
	v_pk_add_f16 v17, v22, v20 neg_lo:[0,1] neg_hi:[0,1]
	s_waitcnt lgkmcnt(0)
	s_barrier
	v_add_f16_sdwa v19, v18, v4 dst_sel:DWORD dst_unused:UNUSED_PAD src0_sel:WORD_1 src1_sel:DWORD
	v_sub_f16_sdwa v20, v4, v18 dst_sel:DWORD dst_unused:UNUSED_PAD src0_sel:DWORD src1_sel:WORD_1
	v_sub_f16_sdwa v21, v18, v18 dst_sel:DWORD dst_unused:UNUSED_PAD src0_sel:WORD_1 src1_sel:DWORD
	v_sub_f16_e32 v4, v18, v4
	v_add_f16_sdwa v22, v17, v17 dst_sel:DWORD dst_unused:UNUSED_PAD src0_sel:WORD_1 src1_sel:DWORD
	v_sub_f16_sdwa v23, v17, v17 dst_sel:DWORD dst_unused:UNUSED_PAD src0_sel:DWORD src1_sel:WORD_1
	v_add_f16_e32 v18, v19, v18
	v_sub_f16_e32 v19, v14, v17
	v_sub_f16_sdwa v17, v17, v14 dst_sel:DWORD dst_unused:UNUSED_PAD src0_sel:WORD_1 src1_sel:DWORD
	v_add_f16_e32 v14, v14, v22
	v_mul_f16_e32 v22, 0x2b26, v4
	v_add_f16_sdwa v4, v18, v1 dst_sel:DWORD dst_unused:UNUSED_PAD src0_sel:DWORD src1_sel:WORD_1
	v_mul_f16_e32 v1, 0x3a52, v21
	v_mul_f16_e32 v23, 0xb846, v23
	;; [unrolled: 1-line block ×3, first 2 shown]
	v_fmamk_f16 v21, v21, 0x3a52, v22
	v_fmamk_f16 v18, v18, 0xbcab, v4
	v_fma_f16 v22, v20, 0x39e0, -v22
	v_fma_f16 v1, v20, 0xb9e0, -v1
	;; [unrolled: 1-line block ×4, first 2 shown]
	v_fmamk_f16 v23, v19, 0x3574, v23
	v_add_f16_e32 v22, v22, v18
	v_add_f16_e32 v1, v1, v18
	v_fmac_f16_e32 v24, 0x370e, v14
	v_fmac_f16_e32 v17, 0x370e, v14
	v_add_f16_e32 v18, v21, v18
	v_fmac_f16_e32 v23, 0x370e, v14
	buffer_gl0_inv
	v_sub_f16_e32 v21, v1, v24
	v_sub_f16_e32 v20, v22, v17
	v_add_f16_e32 v19, v24, v1
	v_add_f16_e32 v22, v17, v22
	v_sub_f16_e32 v24, v18, v23
	v_add_f16_e32 v23, v23, v18
	v_pack_b32_f16 v28, v20, v19
	v_pack_b32_f16 v27, v21, v22
	;; [unrolled: 1-line block ×3, first 2 shown]
	ds_write_b96 v25, v[26:28]
	ds_write_b16 v25, v23 offset:12
	s_waitcnt lgkmcnt(0)
	s_barrier
	buffer_gl0_inv
                                        ; implicit-def: $vgpr28
                                        ; implicit-def: $vgpr27
                                        ; implicit-def: $vgpr26
                                        ; implicit-def: $vgpr25
	s_and_saveexec_b32 s1, s0
	s_cbranch_execnz .LBB0_15
; %bb.13:
	s_or_b32 exec_lo, exec_lo, s1
	s_and_b32 s0, vcc_lo, s0
	s_and_saveexec_b32 s1, s0
	s_cbranch_execnz .LBB0_16
.LBB0_14:
	s_endpgm
.LBB0_15:
	v_add3_u32 v1, 0, v29, v30
	v_add3_u32 v14, 0, v30, v29
	ds_read_u16 v4, v1
	ds_read_u16 v24, v14 offset:14
	ds_read_u16 v21, v14 offset:28
	;; [unrolled: 1-line block ×10, first 2 shown]
	s_or_b32 exec_lo, exec_lo, s1
	s_and_b32 s0, vcc_lo, s0
	s_and_saveexec_b32 s1, s0
	s_cbranch_execz .LBB0_14
.LBB0_16:
	v_mul_u32_u24_e32 v1, 10, v0
	v_add_co_u32 v2, vcc_lo, s2, v2
	v_add_co_ci_u32_e32 v3, vcc_lo, s3, v3, vcc_lo
	v_lshlrev_b32_e32 v1, 2, v1
	s_clause 0x2
	global_load_dwordx4 v[29:32], v1, s[8:9]
	global_load_dwordx2 v[37:38], v1, s[8:9] offset:32
	global_load_dwordx4 v[33:36], v1, s[8:9] offset:16
	v_mov_b32_e32 v1, 0
	v_lshlrev_b64 v[0:1], 2, v[0:1]
	v_add_co_u32 v0, vcc_lo, v2, v0
	v_add_co_ci_u32_e32 v1, vcc_lo, v3, v1, vcc_lo
	s_waitcnt vmcnt(2) lgkmcnt(9)
	v_mul_f16_sdwa v3, v24, v29 dst_sel:DWORD dst_unused:UNUSED_PAD src0_sel:DWORD src1_sel:WORD_1
	v_mul_f16_sdwa v40, v8, v29 dst_sel:DWORD dst_unused:UNUSED_PAD src0_sel:DWORD src1_sel:WORD_1
	s_waitcnt lgkmcnt(8)
	v_mul_f16_sdwa v41, v21, v30 dst_sel:DWORD dst_unused:UNUSED_PAD src0_sel:DWORD src1_sel:WORD_1
	s_waitcnt vmcnt(1) lgkmcnt(1)
	v_mul_f16_sdwa v42, v27, v37 dst_sel:DWORD dst_unused:UNUSED_PAD src0_sel:DWORD src1_sel:WORD_1
	v_mul_f16_sdwa v43, v11, v30 dst_sel:DWORD dst_unused:UNUSED_PAD src0_sel:DWORD src1_sel:WORD_1
	v_fma_f16 v54, v8, v29, -v3
	v_fmac_f16_e32 v40, v24, v29
	s_waitcnt lgkmcnt(0)
	v_mul_f16_sdwa v39, v28, v38 dst_sel:DWORD dst_unused:UNUSED_PAD src0_sel:DWORD src1_sel:WORD_1
	v_mul_f16_sdwa v2, v16, v38 dst_sel:DWORD dst_unused:UNUSED_PAD src0_sel:DWORD src1_sel:WORD_1
	;; [unrolled: 1-line block ×3, first 2 shown]
	s_waitcnt vmcnt(0)
	v_mul_f16_sdwa v45, v26, v36 dst_sel:DWORD dst_unused:UNUSED_PAD src0_sel:DWORD src1_sel:WORD_1
	v_mul_f16_sdwa v47, v20, v32 dst_sel:DWORD dst_unused:UNUSED_PAD src0_sel:DWORD src1_sel:WORD_1
	;; [unrolled: 1-line block ×8, first 2 shown]
	v_fma_f16 v11, v11, v30, -v41
	v_fma_f16 v8, v15, v37, -v42
	v_fmac_f16_e32 v43, v21, v30
	v_add_f16_e32 v29, v4, v40
	v_add_f16_e32 v30, v5, v54
	v_mul_f16_sdwa v14, v15, v37 dst_sel:DWORD dst_unused:UNUSED_PAD src0_sel:DWORD src1_sel:WORD_1
	v_mul_f16_sdwa v17, v13, v36 dst_sel:DWORD dst_unused:UNUSED_PAD src0_sel:DWORD src1_sel:WORD_1
	;; [unrolled: 1-line block ×4, first 2 shown]
	v_fma_f16 v3, v16, v38, -v39
	v_fmac_f16_e32 v2, v28, v38
	v_fma_f16 v15, v7, v31, -v44
	v_fma_f16 v7, v13, v36, -v45
	;; [unrolled: 1-line block ×6, first 2 shown]
	v_fmac_f16_e32 v46, v22, v31
	v_fmac_f16_e32 v49, v20, v32
	;; [unrolled: 1-line block ×3, first 2 shown]
	v_sub_f16_e32 v19, v11, v8
	v_add_f16_e32 v32, v11, v8
	v_add_f16_e32 v29, v29, v43
	;; [unrolled: 1-line block ×3, first 2 shown]
	v_fmac_f16_e32 v14, v27, v37
	v_fmac_f16_e32 v17, v26, v36
	;; [unrolled: 1-line block ×4, first 2 shown]
	v_sub_f16_e32 v13, v54, v3
	v_sub_f16_e32 v21, v15, v7
	;; [unrolled: 1-line block ×5, first 2 shown]
	v_add_f16_e32 v29, v29, v46
	v_add_f16_e32 v11, v11, v15
	;; [unrolled: 1-line block ×8, first 2 shown]
	v_sub_f16_e32 v31, v43, v14
	v_sub_f16_e32 v33, v46, v17
	;; [unrolled: 1-line block ×4, first 2 shown]
	v_mul_f16_e32 v39, 0xb482, v13
	v_mul_f16_e32 v40, 0x3853, v19
	;; [unrolled: 1-line block ×30, first 2 shown]
	v_add_f16_e32 v36, v6, v12
	v_add_f16_e32 v6, v11, v6
	;; [unrolled: 1-line block ×5, first 2 shown]
	v_mul_f16_e32 v30, 0x3853, v31
	v_mul_f16_e32 v43, 0x3beb, v31
	;; [unrolled: 1-line block ×20, first 2 shown]
	v_fmamk_f16 v82, v16, 0xbbad, v39
	v_fmamk_f16 v83, v20, 0x3abb, v40
	;; [unrolled: 1-line block ×13, first 2 shown]
	v_fma_f16 v39, v16, 0xbbad, -v39
	v_fma_f16 v44, v16, 0xb93d, -v44
	v_fma_f16 v50, v16, 0xb08e, -v50
	v_fma_f16 v56, v16, 0x36a6, -v56
	v_fma_f16 v13, v16, 0x3abb, -v13
	v_fmamk_f16 v16, v20, 0x36a6, v19
	v_fma_f16 v40, v20, 0x3abb, -v40
	v_fma_f16 v45, v20, 0xb08e, -v45
	v_fma_f16 v51, v20, 0xbbad, -v51
	v_fma_f16 v57, v20, 0xb93d, -v57
	v_fma_f16 v19, v20, 0x36a6, -v19
	v_fmamk_f16 v20, v22, 0xb08e, v21
	;; [unrolled: 6-line block ×3, first 2 shown]
	v_fma_f16 v42, v24, 0x36a6, -v42
	v_fmamk_f16 v95, v24, 0xbbad, v48
	v_fma_f16 v48, v24, 0xbbad, -v48
	v_fmamk_f16 v96, v24, 0x3abb, v55
	;; [unrolled: 2-line block ×9, first 2 shown]
	v_fma_f16 v25, v26, 0xbbad, -v25
	v_fma_f16 v26, v28, 0xbbad, -v64
	v_fmac_f16_e32 v64, 0xbbad, v28
	v_fma_f16 v106, v28, 0x3abb, -v27
	v_fma_f16 v103, v28, 0xb93d, -v65
	v_fmac_f16_e32 v65, 0xb93d, v28
	;; [unrolled: 3-line block ×3, first 2 shown]
	v_fmac_f16_e32 v67, 0x36a6, v28
	v_add_f16_e32 v6, v6, v10
	v_add_f16_e32 v10, v11, v53
	v_fmac_f16_e32 v27, 0x3abb, v28
	v_fma_f16 v28, v32, 0x3abb, -v30
	v_fmac_f16_e32 v30, 0x3abb, v32
	v_fma_f16 v107, v32, 0xb08e, -v43
	;; [unrolled: 2-line block ×20, first 2 shown]
	v_fmac_f16_e32 v37, 0xbbad, v38
	v_add_f16_e32 v29, v4, v82
	v_add_f16_e32 v38, v4, v85
	;; [unrolled: 1-line block ×110, first 2 shown]
	v_pack_b32_f16 v8, v20, v16
	v_pack_b32_f16 v9, v10, v9
	;; [unrolled: 1-line block ×11, first 2 shown]
	global_store_dword v[0:1], v8, off offset:28
	global_store_dword v[0:1], v14, off offset:56
	;; [unrolled: 1-line block ×9, first 2 shown]
	global_store_dword v[0:1], v2, off
	global_store_dword v[0:1], v4, off offset:280
	s_endpgm
	.section	.rodata,"a",@progbits
	.p2align	6, 0x0
	.amdhsa_kernel fft_rtc_fwd_len77_factors_7_11_wgs_253_tpt_11_halfLds_half_ip_CI_unitstride_sbrr_dirReg
		.amdhsa_group_segment_fixed_size 0
		.amdhsa_private_segment_fixed_size 0
		.amdhsa_kernarg_size 88
		.amdhsa_user_sgpr_count 6
		.amdhsa_user_sgpr_private_segment_buffer 1
		.amdhsa_user_sgpr_dispatch_ptr 0
		.amdhsa_user_sgpr_queue_ptr 0
		.amdhsa_user_sgpr_kernarg_segment_ptr 1
		.amdhsa_user_sgpr_dispatch_id 0
		.amdhsa_user_sgpr_flat_scratch_init 0
		.amdhsa_user_sgpr_private_segment_size 0
		.amdhsa_wavefront_size32 1
		.amdhsa_uses_dynamic_stack 0
		.amdhsa_system_sgpr_private_segment_wavefront_offset 0
		.amdhsa_system_sgpr_workgroup_id_x 1
		.amdhsa_system_sgpr_workgroup_id_y 0
		.amdhsa_system_sgpr_workgroup_id_z 0
		.amdhsa_system_sgpr_workgroup_info 0
		.amdhsa_system_vgpr_workitem_id 0
		.amdhsa_next_free_vgpr 121
		.amdhsa_next_free_sgpr 21
		.amdhsa_reserve_vcc 1
		.amdhsa_reserve_flat_scratch 0
		.amdhsa_float_round_mode_32 0
		.amdhsa_float_round_mode_16_64 0
		.amdhsa_float_denorm_mode_32 3
		.amdhsa_float_denorm_mode_16_64 3
		.amdhsa_dx10_clamp 1
		.amdhsa_ieee_mode 1
		.amdhsa_fp16_overflow 0
		.amdhsa_workgroup_processor_mode 1
		.amdhsa_memory_ordered 1
		.amdhsa_forward_progress 0
		.amdhsa_shared_vgpr_count 0
		.amdhsa_exception_fp_ieee_invalid_op 0
		.amdhsa_exception_fp_denorm_src 0
		.amdhsa_exception_fp_ieee_div_zero 0
		.amdhsa_exception_fp_ieee_overflow 0
		.amdhsa_exception_fp_ieee_underflow 0
		.amdhsa_exception_fp_ieee_inexact 0
		.amdhsa_exception_int_div_zero 0
	.end_amdhsa_kernel
	.text
.Lfunc_end0:
	.size	fft_rtc_fwd_len77_factors_7_11_wgs_253_tpt_11_halfLds_half_ip_CI_unitstride_sbrr_dirReg, .Lfunc_end0-fft_rtc_fwd_len77_factors_7_11_wgs_253_tpt_11_halfLds_half_ip_CI_unitstride_sbrr_dirReg
                                        ; -- End function
	.section	.AMDGPU.csdata,"",@progbits
; Kernel info:
; codeLenInByte = 4856
; NumSgprs: 23
; NumVgprs: 121
; ScratchSize: 0
; MemoryBound: 0
; FloatMode: 240
; IeeeMode: 1
; LDSByteSize: 0 bytes/workgroup (compile time only)
; SGPRBlocks: 2
; VGPRBlocks: 15
; NumSGPRsForWavesPerEU: 23
; NumVGPRsForWavesPerEU: 121
; Occupancy: 8
; WaveLimiterHint : 1
; COMPUTE_PGM_RSRC2:SCRATCH_EN: 0
; COMPUTE_PGM_RSRC2:USER_SGPR: 6
; COMPUTE_PGM_RSRC2:TRAP_HANDLER: 0
; COMPUTE_PGM_RSRC2:TGID_X_EN: 1
; COMPUTE_PGM_RSRC2:TGID_Y_EN: 0
; COMPUTE_PGM_RSRC2:TGID_Z_EN: 0
; COMPUTE_PGM_RSRC2:TIDIG_COMP_CNT: 0
	.text
	.p2alignl 6, 3214868480
	.fill 48, 4, 3214868480
	.type	__hip_cuid_8e9afd2150e851e2,@object ; @__hip_cuid_8e9afd2150e851e2
	.section	.bss,"aw",@nobits
	.globl	__hip_cuid_8e9afd2150e851e2
__hip_cuid_8e9afd2150e851e2:
	.byte	0                               ; 0x0
	.size	__hip_cuid_8e9afd2150e851e2, 1

	.ident	"AMD clang version 19.0.0git (https://github.com/RadeonOpenCompute/llvm-project roc-6.4.0 25133 c7fe45cf4b819c5991fe208aaa96edf142730f1d)"
	.section	".note.GNU-stack","",@progbits
	.addrsig
	.addrsig_sym __hip_cuid_8e9afd2150e851e2
	.amdgpu_metadata
---
amdhsa.kernels:
  - .args:
      - .actual_access:  read_only
        .address_space:  global
        .offset:         0
        .size:           8
        .value_kind:     global_buffer
      - .offset:         8
        .size:           8
        .value_kind:     by_value
      - .actual_access:  read_only
        .address_space:  global
        .offset:         16
        .size:           8
        .value_kind:     global_buffer
      - .actual_access:  read_only
        .address_space:  global
        .offset:         24
        .size:           8
        .value_kind:     global_buffer
      - .offset:         32
        .size:           8
        .value_kind:     by_value
      - .actual_access:  read_only
        .address_space:  global
        .offset:         40
        .size:           8
        .value_kind:     global_buffer
      - .actual_access:  read_only
        .address_space:  global
        .offset:         48
        .size:           8
        .value_kind:     global_buffer
      - .offset:         56
        .size:           4
        .value_kind:     by_value
      - .actual_access:  read_only
        .address_space:  global
        .offset:         64
        .size:           8
        .value_kind:     global_buffer
      - .actual_access:  read_only
        .address_space:  global
        .offset:         72
        .size:           8
        .value_kind:     global_buffer
      - .address_space:  global
        .offset:         80
        .size:           8
        .value_kind:     global_buffer
    .group_segment_fixed_size: 0
    .kernarg_segment_align: 8
    .kernarg_segment_size: 88
    .language:       OpenCL C
    .language_version:
      - 2
      - 0
    .max_flat_workgroup_size: 253
    .name:           fft_rtc_fwd_len77_factors_7_11_wgs_253_tpt_11_halfLds_half_ip_CI_unitstride_sbrr_dirReg
    .private_segment_fixed_size: 0
    .sgpr_count:     23
    .sgpr_spill_count: 0
    .symbol:         fft_rtc_fwd_len77_factors_7_11_wgs_253_tpt_11_halfLds_half_ip_CI_unitstride_sbrr_dirReg.kd
    .uniform_work_group_size: 1
    .uses_dynamic_stack: false
    .vgpr_count:     121
    .vgpr_spill_count: 0
    .wavefront_size: 32
    .workgroup_processor_mode: 1
amdhsa.target:   amdgcn-amd-amdhsa--gfx1030
amdhsa.version:
  - 1
  - 2
...

	.end_amdgpu_metadata
